;; amdgpu-corpus repo=ROCm/aiter kind=harvested arch=n/a opt=n/a

/root/src/amdgpu-assembly/repos/ROCm__aiter/hsa/gfx950/topksoftmax/topksoftmax_4x256x6_bf16.co:	file format elf64-amdgpu

Disassembly of section .text:

0000000000001c00 <_ZN5aiter24topksoftmax_4x256x6_bf16E>:
	s_and_b32 s1, s1, 0xffff                                   // 000000001C00: 8601FF01 0000FFFF
	s_load_dwordx2 s[4:5], s[0:1], 0x0                         // 000000001C08: C0060100 00000000
	s_load_dwordx2 s[8:9], s[0:1], 0x10                        // 000000001C10: C0060200 00000010
	s_load_dwordx2 s[12:13], s[0:1], 0x20                      // 000000001C18: C0060300 00000020
	s_load_dword s16, s[0:1], 0x30                             // 000000001C20: C0020400 00000030
	s_load_dword s17, s[0:1], 0x40                             // 000000001C28: C0020440 00000040
	s_load_dword s18, s[0:1], 0x50                             // 000000001C30: C0020480 00000050
	s_load_dword s54, s[0:1], 0x60                             // 000000001C38: C0020D80 00000060
	s_load_dword s55, s[0:1], 0x70                             // 000000001C40: C0020DC0 00000070
	v_lshrrev_b32_e32 v1, 10, v0                               // 000000001C48: 2002008A
	v_lshrrev_b32_e32 v2, 10, v1                               // 000000001C4C: 2004028A
	v_and_b32_e32 v2, 0x3ff, v2                                // 000000001C50: 260404FF 000003FF
	v_and_b32_e32 v1, 0x3ff, v1                                // 000000001C58: 260202FF 000003FF
	v_and_b32_e32 v0, 0x3ff, v0                                // 000000001C60: 260000FF 000003FF
	v_lshrrev_b32_e32 v3, 6, v0                                // 000000001C68: 20060086
	v_and_b32_e32 v0, 63, v0                                   // 000000001C6C: 260000BF
	s_mov_b32 s19, s2                                          // 000000001C70: BE930002
	v_readfirstlane_b32 s52, v3                                // 000000001C74: 7E680503
	s_waitcnt lgkmcnt(0)                                       // 000000001C78: BF8CC07F
	s_mov_b32 s6, -16                                          // 000000001C7C: BE8600D0
	s_mov_b32 s10, -16                                         // 000000001C80: BE8A00D0
	s_mov_b32 s14, -16                                         // 000000001C84: BE8E00D0
	s_mov_b32 s7, 0x20000                                      // 000000001C88: BE8700FF 00020000
	s_mov_b32 s11, 0x20000                                     // 000000001C90: BE8B00FF 00020000
	s_mov_b32 s15, 0x20000                                     // 000000001C98: BE8F00FF 00020000
	s_and_b32 s5, s5, 0xffff                                   // 000000001CA0: 8605FF05 0000FFFF
	s_and_b32 s9, s9, 0xffff                                   // 000000001CA8: 8609FF09 0000FFFF
	s_and_b32 s13, s13, 0xffff                                 // 000000001CB0: 860DFF0D 0000FFFF
	s_or_b32 s5, s5, 0x40000                                   // 000000001CB8: 8705FF05 00040000
	s_or_b32 s9, s9, 0x40000                                   // 000000001CC0: 8709FF09 00040000
	s_or_b32 s13, s13, 0x40000                                 // 000000001CC8: 870DFF0D 00040000
	s_mul_i32 s20, s16, s17                                    // 000000001CD0: 92141110
	s_mul_i32 s20, s20, 2                                      // 000000001CD4: 92148214
	s_mov_b32 s14, s20                                         // 000000001CD8: BE8E0014
	v_lshlrev_b32_e32 v8, 1, v0                                // 000000001CDC: 24100081
	s_mul_i32 s20, s17, 2                                      // 000000001CE0: 92148211
	s_mul_i32 s21, s19, 4                                      // 000000001CE4: 92158413
	s_add_i32 s21, s21, s52                                    // 000000001CE8: 81153415
	s_mul_i32 s20, s20, s21                                    // 000000001CEC: 92141514
	v_add_u32_e32 v8, s20, v8                                  // 000000001CF0: 68101014
	buffer_load_short_d16 v11, v8, s[12:15], 0 offen           // 000000001CF4: E0901000 80030B08
	buffer_load_short_d16 v12, v8, s[12:15], 0 offen offset:128// 000000001CFC: E0901080 80030C08
	buffer_load_short_d16 v13, v8, s[12:15], 0 offen offset:256// 000000001D04: E0901100 80030D08
	buffer_load_short_d16 v14, v8, s[12:15], 0 offen offset:384// 000000001D0C: E0901180 80030E08
	v_mov_b32_e32 v17, 0                                       // 000000001D14: 7E220280
	v_mov_b32_e32 v18, 0                                       // 000000001D18: 7E240280
	v_mov_b32_e32 v19, 0                                       // 000000001D1C: 7E260280
	v_mov_b32_e32 v20, 0                                       // 000000001D20: 7E280280
	v_mov_b32_e32 v15, 0                                       // 000000001D24: 7E1E0280
	v_mov_b32_e32 v16, 0                                       // 000000001D28: 7E200280
	v_mov_b32_e32 v21, 0                                       // 000000001D2C: 7E2A0280
	s_mov_b32 s18, 6                                           // 000000001D30: BE920086
	v_lshlrev_b32_e32 v9, 2, v0                                // 000000001D34: 24120082
	s_mov_b32 s20, s55                                         // 000000001D38: BE940037
	s_mul_i32 s21, s19, 4                                      // 000000001D3C: 92158413
	s_add_i32 s21, s21, s52                                    // 000000001D40: 81153415
	s_mul_i32 s20, s20, s21                                    // 000000001D44: 92141514
	v_add_u32_e32 v9, s20, v9                                  // 000000001D48: 68121214
	v_mov_b32_e32 v10, v9                                      // 000000001D4C: 7E140309
	s_mul_i32 s20, s16, s55                                    // 000000001D50: 92143710
	s_mov_b32 s6, s20                                          // 000000001D54: BE860014
	s_mov_b32 s10, s20                                         // 000000001D58: BE8A0014
	s_mov_b32 s53, 0x3fb8aa3b                                  // 000000001D5C: BEB500FF 3FB8AA3B
	s_mov_b32 s40, 0                                           // 000000001D64: BEA80080
	s_mov_b32 s46, 1                                           // 000000001D68: BEAE0081
	s_mov_b32 s41, 0                                           // 000000001D6C: BEA90080
	s_mov_b32 s47, 1                                           // 000000001D70: BEAF0081
	s_mov_b32 s42, 0                                           // 000000001D74: BEAA0080
	s_mov_b32 s48, 1                                           // 000000001D78: BEB00081
	s_mov_b32 s43, 0                                           // 000000001D7C: BEAB0080
	s_mov_b32 s49, 1                                           // 000000001D80: BEB10081
	s_mov_b32 s44, 0                                           // 000000001D84: BEAC0080
	s_mov_b32 s50, 1                                           // 000000001D88: BEB20081
	s_mov_b32 s45, 0                                           // 000000001D8C: BEAD0080
	s_mov_b32 s51, 1                                           // 000000001D90: BEB30081
	s_waitcnt vmcnt(0) expcnt(0) lgkmcnt(0)                    // 000000001D94: BF8C0000
	v_lshlrev_b32_e32 v11, 16, v11                             // 000000001D98: 24161690
	v_lshlrev_b32_e32 v12, 16, v12                             // 000000001D9C: 24181890
	v_lshlrev_b32_e32 v13, 16, v13                             // 000000001DA0: 241A1A90
	v_lshlrev_b32_e32 v14, 16, v14                             // 000000001DA4: 241C1C90
	v_mul_f32_e64 v11, v11, s53                                // 000000001DA8: D105000B 00006B0B
	v_exp_f32_e32 v11, v11                                     // 000000001DB0: 7E16410B
	v_mul_f32_e64 v12, v12, s53                                // 000000001DB4: D105000C 00006B0C
	v_exp_f32_e32 v12, v12                                     // 000000001DBC: 7E18410C
	v_mul_f32_e64 v13, v13, s53                                // 000000001DC0: D105000D 00006B0D
	v_exp_f32_e32 v13, v13                                     // 000000001DC8: 7E1A410D
	v_mul_f32_e64 v14, v14, s53                                // 000000001DCC: D105000E 00006B0E
	v_exp_f32_e32 v14, v14                                     // 000000001DD4: 7E1C410E
	s_nop 0                                                    // 000000001DD8: BF800000
	v_add_f32_e32 v17, v17, v11                                // 000000001DDC: 02221711
	v_add_f32_e32 v17, v17, v12                                // 000000001DE0: 02221911
	v_add_f32_e32 v17, v17, v13                                // 000000001DE4: 02221B11
	v_add_f32_e32 v17, v17, v14                                // 000000001DE8: 02221D11
	s_nop 1                                                    // 000000001DEC: BF800001
	v_add_f32_dpp v4, v17, v17 quad_perm:[1,0,3,2] row_mask:0xf bank_mask:0xf// 000000001DF0: 020822FA FF00B111
	s_nop 1                                                    // 000000001DF8: BF800001
	v_add_f32_dpp v4, v4, v4 quad_perm:[2,3,0,1] row_mask:0xf bank_mask:0xf// 000000001DFC: 020808FA FF004E04
	s_nop 1                                                    // 000000001E04: BF800001
	v_add_f32_dpp v4, v4, v4 row_shr:4 row_mask:0xf bank_mask:0xf// 000000001E08: 020808FA FF011404
	s_nop 1                                                    // 000000001E10: BF800001
	v_add_f32_dpp v4, v4, v4 row_shr:8 row_mask:0xf bank_mask:0xf// 000000001E14: 020808FA FF011804
	s_nop 1                                                    // 000000001E1C: BF800001
	v_add_f32_dpp v4, v4, v4 row_bcast:15 row_mask:0xf bank_mask:0xf// 000000001E20: 020808FA FF014204
	s_nop 1                                                    // 000000001E28: BF800001
	v_add_f32_dpp v4, v4, v4 row_bcast:31 row_mask:0xf bank_mask:0xf// 000000001E2C: 020808FA FF014304
	s_nop 0                                                    // 000000001E34: BF800000
	v_readlane_b32 s20, v4, 63                                 // 000000001E38: D2890014 00017F04
	v_mov_b32_e32 v18, s20                                     // 000000001E40: 7E240214
	v_rcp_f32_e32 v17, v18                                     // 000000001E44: 7E224512
	s_nop 0                                                    // 000000001E48: BF800000
	v_mul_f32_e32 v11, v11, v17                                // 000000001E4C: 0A16230B
	v_mul_f32_e32 v12, v12, v17                                // 000000001E50: 0A18230C
	v_mul_f32_e32 v13, v13, v17                                // 000000001E54: 0A1A230D
	v_mul_f32_e32 v14, v14, v17                                // 000000001E58: 0A1C230E
	s_cmp_eq_u32 s54, 0                                        // 000000001E5C: BF068036
	s_cbranch_scc0 label_023D                                  // 000000001E60: BF8401A4
	v_max_f32_e32 v19, v11, v12                                // 000000001E64: 1626190B
	v_max3_f32 v19, v19, v13, v14                              // 000000001E68: D1D30013 043A1B13
	s_nop 1                                                    // 000000001E70: BF800001
	v_max_f32_dpp v4, v19, v19 quad_perm:[1,0,3,2] row_mask:0xf bank_mask:0xf// 000000001E74: 160826FA FF00B113
	s_nop 1                                                    // 000000001E7C: BF800001
	v_max_f32_dpp v4, v4, v4 quad_perm:[2,3,0,1] row_mask:0xf bank_mask:0xf// 000000001E80: 160808FA FF004E04
	s_nop 1                                                    // 000000001E88: BF800001
	v_max_f32_dpp v4, v4, v4 row_shr:4 row_mask:0xf bank_mask:0xf// 000000001E8C: 160808FA FF011404
	s_nop 1                                                    // 000000001E94: BF800001
	v_max_f32_dpp v4, v4, v4 row_shr:8 row_mask:0xf bank_mask:0xf// 000000001E98: 160808FA FF011804
	s_nop 1                                                    // 000000001EA0: BF800001
	v_max_f32_dpp v4, v4, v4 row_bcast:15 row_mask:0xf bank_mask:0xf// 000000001EA4: 160808FA FF014204
	s_nop 1                                                    // 000000001EAC: BF800001
	v_max_f32_dpp v4, v4, v4 row_bcast:31 row_mask:0xf bank_mask:0xf// 000000001EB0: 160808FA FF014304
	s_nop 0                                                    // 000000001EB8: BF800000
	v_readlane_b32 s20, v4, 63                                 // 000000001EBC: D2890014 00017F04
	v_mov_b32_e32 v19, s20                                     // 000000001EC4: 7E260214
	v_cmp_eq_f32_e64 s[24:25], v19, v11                        // 000000001EC8: D0420018 00021713
	v_cmp_eq_f32_e64 s[26:27], v19, v12                        // 000000001ED0: D042001A 00021913
	v_cmp_eq_f32_e64 s[28:29], v19, v13                        // 000000001ED8: D042001C 00021B13
	v_cmp_eq_f32_e64 s[30:31], v19, v14                        // 000000001EE0: D042001E 00021D13
	s_ff1_i32_b64 s32, s[24:25]                                // 000000001EE8: BEA01118
	s_ff1_i32_b64 s33, s[26:27]                                // 000000001EEC: BEA1111A
	s_ff1_i32_b64 s34, s[28:29]                                // 000000001EF0: BEA2111C
	s_ff1_i32_b64 s35, s[30:31]                                // 000000001EF4: BEA3111E
	v_readlane_b32 s20, v19, 0                                 // 000000001EF8: D2890014 00010113
	v_writelane_b32 v16, s20, 0                                // 000000001F00: D28A0010 00010014
	s_mov_b32 s22, s32                                         // 000000001F08: BE960020
	s_cmp_eq_u32 s32, -1                                       // 000000001F0C: BF06C120
	s_cselect_b32 s21, 1, 0                                    // 000000001F10: 85158081
	s_cbranch_scc0 label_00D6                                  // 000000001F14: BF840010
	s_add_u32 s40, s21, s40                                    // 000000001F18: 80282815
	s_mov_b32 s22, s33                                         // 000000001F1C: BE960021
	s_cmp_eq_u32 s33, -1                                       // 000000001F20: BF06C121
	s_cselect_b32 s21, 1, 0                                    // 000000001F24: 85158081
	s_cbranch_scc0 label_00D6                                  // 000000001F28: BF84000B
	s_add_u32 s40, s21, s40                                    // 000000001F2C: 80282815
	s_mov_b32 s22, s34                                         // 000000001F30: BE960022
	s_cmp_eq_u32 s34, -1                                       // 000000001F34: BF06C122
	s_cselect_b32 s21, 1, 0                                    // 000000001F38: 85158081
	s_cbranch_scc0 label_00D6                                  // 000000001F3C: BF840006
	s_add_u32 s40, s21, s40                                    // 000000001F40: 80282815
	s_mov_b32 s22, s35                                         // 000000001F44: BE960023
	s_cmp_eq_u32 s35, -1                                       // 000000001F48: BF06C123
	s_cselect_b32 s21, 1, 0                                    // 000000001F4C: 85158081
	s_cbranch_scc0 label_00D6                                  // 000000001F50: BF840001
	s_add_u32 s40, s21, s40                                    // 000000001F54: 80282815

0000000000001f58 <label_00D6>:
	s_set_gpr_idx_on s40, gpr_idx(DST)                         // 000000001F58: BF110828
	v_writelane_b32 v11, 0, s22                                // 000000001F5C: D28A000B 00002C80
	s_set_gpr_idx_off                                          // 000000001F64: BF9C0000
	s_mul_i32 s40, 64, s40                                     // 000000001F68: 922828C0
	s_add_u32 s40, s22, s40                                    // 000000001F6C: 80282816
	v_writelane_b32 v15, s40, 0                                // 000000001F70: D28A000F 00010028
	v_max_f32_e32 v19, v11, v12                                // 000000001F78: 1626190B
	v_max3_f32 v19, v19, v13, v14                              // 000000001F7C: D1D30013 043A1B13
	s_nop 1                                                    // 000000001F84: BF800001
	v_max_f32_dpp v4, v19, v19 quad_perm:[1,0,3,2] row_mask:0xf bank_mask:0xf// 000000001F88: 160826FA FF00B113
	s_nop 1                                                    // 000000001F90: BF800001
	v_max_f32_dpp v4, v4, v4 quad_perm:[2,3,0,1] row_mask:0xf bank_mask:0xf// 000000001F94: 160808FA FF004E04
	s_nop 1                                                    // 000000001F9C: BF800001
	v_max_f32_dpp v4, v4, v4 row_shr:4 row_mask:0xf bank_mask:0xf// 000000001FA0: 160808FA FF011404
	s_nop 1                                                    // 000000001FA8: BF800001
	v_max_f32_dpp v4, v4, v4 row_shr:8 row_mask:0xf bank_mask:0xf// 000000001FAC: 160808FA FF011804
	s_nop 1                                                    // 000000001FB4: BF800001
	v_max_f32_dpp v4, v4, v4 row_bcast:15 row_mask:0xf bank_mask:0xf// 000000001FB8: 160808FA FF014204
	s_nop 1                                                    // 000000001FC0: BF800001
	v_max_f32_dpp v4, v4, v4 row_bcast:31 row_mask:0xf bank_mask:0xf// 000000001FC4: 160808FA FF014304
	s_nop 0                                                    // 000000001FCC: BF800000
	v_readlane_b32 s20, v4, 63                                 // 000000001FD0: D2890014 00017F04
	v_mov_b32_e32 v19, s20                                     // 000000001FD8: 7E260214
	v_cmp_eq_f32_e64 s[24:25], v19, v11                        // 000000001FDC: D0420018 00021713
	v_cmp_eq_f32_e64 s[26:27], v19, v12                        // 000000001FE4: D042001A 00021913
	v_cmp_eq_f32_e64 s[28:29], v19, v13                        // 000000001FEC: D042001C 00021B13
	v_cmp_eq_f32_e64 s[30:31], v19, v14                        // 000000001FF4: D042001E 00021D13
	s_ff1_i32_b64 s32, s[24:25]                                // 000000001FFC: BEA01118
	s_ff1_i32_b64 s33, s[26:27]                                // 000000002000: BEA1111A
	s_ff1_i32_b64 s34, s[28:29]                                // 000000002004: BEA2111C
	s_ff1_i32_b64 s35, s[30:31]                                // 000000002008: BEA3111E
	v_readlane_b32 s20, v19, 0                                 // 00000000200C: D2890014 00010113
	v_writelane_b32 v16, s20, 1                                // 000000002014: D28A0010 00010214
	s_mov_b32 s22, s32                                         // 00000000201C: BE960020
	s_cmp_eq_u32 s32, -1                                       // 000000002020: BF06C120
	s_cselect_b32 s21, 1, 0                                    // 000000002024: 85158081
	s_cbranch_scc0 label_011B                                  // 000000002028: BF840010
	s_add_u32 s41, s21, s41                                    // 00000000202C: 80292915
	s_mov_b32 s22, s33                                         // 000000002030: BE960021
	s_cmp_eq_u32 s33, -1                                       // 000000002034: BF06C121
	s_cselect_b32 s21, 1, 0                                    // 000000002038: 85158081
	s_cbranch_scc0 label_011B                                  // 00000000203C: BF84000B
	s_add_u32 s41, s21, s41                                    // 000000002040: 80292915
	s_mov_b32 s22, s34                                         // 000000002044: BE960022
	s_cmp_eq_u32 s34, -1                                       // 000000002048: BF06C122
	s_cselect_b32 s21, 1, 0                                    // 00000000204C: 85158081
	s_cbranch_scc0 label_011B                                  // 000000002050: BF840006
	s_add_u32 s41, s21, s41                                    // 000000002054: 80292915
	s_mov_b32 s22, s35                                         // 000000002058: BE960023
	s_cmp_eq_u32 s35, -1                                       // 00000000205C: BF06C123
	s_cselect_b32 s21, 1, 0                                    // 000000002060: 85158081
	s_cbranch_scc0 label_011B                                  // 000000002064: BF840001
	s_add_u32 s41, s21, s41                                    // 000000002068: 80292915

000000000000206c <label_011B>:
	s_set_gpr_idx_on s41, gpr_idx(DST)                         // 00000000206C: BF110829
	v_writelane_b32 v11, 0, s22                                // 000000002070: D28A000B 00002C80
	s_set_gpr_idx_off                                          // 000000002078: BF9C0000
	s_mul_i32 s41, 64, s41                                     // 00000000207C: 922929C0
	s_add_u32 s41, s22, s41                                    // 000000002080: 80292916
	v_writelane_b32 v15, s41, 1                                // 000000002084: D28A000F 00010229
	v_max_f32_e32 v19, v11, v12                                // 00000000208C: 1626190B
	v_max3_f32 v19, v19, v13, v14                              // 000000002090: D1D30013 043A1B13
	s_nop 1                                                    // 000000002098: BF800001
	v_max_f32_dpp v4, v19, v19 quad_perm:[1,0,3,2] row_mask:0xf bank_mask:0xf// 00000000209C: 160826FA FF00B113
	s_nop 1                                                    // 0000000020A4: BF800001
	v_max_f32_dpp v4, v4, v4 quad_perm:[2,3,0,1] row_mask:0xf bank_mask:0xf// 0000000020A8: 160808FA FF004E04
	s_nop 1                                                    // 0000000020B0: BF800001
	v_max_f32_dpp v4, v4, v4 row_shr:4 row_mask:0xf bank_mask:0xf// 0000000020B4: 160808FA FF011404
	s_nop 1                                                    // 0000000020BC: BF800001
	v_max_f32_dpp v4, v4, v4 row_shr:8 row_mask:0xf bank_mask:0xf// 0000000020C0: 160808FA FF011804
	s_nop 1                                                    // 0000000020C8: BF800001
	v_max_f32_dpp v4, v4, v4 row_bcast:15 row_mask:0xf bank_mask:0xf// 0000000020CC: 160808FA FF014204
	s_nop 1                                                    // 0000000020D4: BF800001
	v_max_f32_dpp v4, v4, v4 row_bcast:31 row_mask:0xf bank_mask:0xf// 0000000020D8: 160808FA FF014304
	s_nop 0                                                    // 0000000020E0: BF800000
	v_readlane_b32 s20, v4, 63                                 // 0000000020E4: D2890014 00017F04
	v_mov_b32_e32 v19, s20                                     // 0000000020EC: 7E260214
	v_cmp_eq_f32_e64 s[24:25], v19, v11                        // 0000000020F0: D0420018 00021713
	v_cmp_eq_f32_e64 s[26:27], v19, v12                        // 0000000020F8: D042001A 00021913
	v_cmp_eq_f32_e64 s[28:29], v19, v13                        // 000000002100: D042001C 00021B13
	v_cmp_eq_f32_e64 s[30:31], v19, v14                        // 000000002108: D042001E 00021D13
	s_ff1_i32_b64 s32, s[24:25]                                // 000000002110: BEA01118
	s_ff1_i32_b64 s33, s[26:27]                                // 000000002114: BEA1111A
	s_ff1_i32_b64 s34, s[28:29]                                // 000000002118: BEA2111C
	s_ff1_i32_b64 s35, s[30:31]                                // 00000000211C: BEA3111E
	v_readlane_b32 s20, v19, 0                                 // 000000002120: D2890014 00010113
	v_writelane_b32 v16, s20, 2                                // 000000002128: D28A0010 00010414
	s_mov_b32 s22, s32                                         // 000000002130: BE960020
	s_cmp_eq_u32 s32, -1                                       // 000000002134: BF06C120
	s_cselect_b32 s21, 1, 0                                    // 000000002138: 85158081
	s_cbranch_scc0 label_0160                                  // 00000000213C: BF840010
	s_add_u32 s42, s21, s42                                    // 000000002140: 802A2A15
	s_mov_b32 s22, s33                                         // 000000002144: BE960021
	s_cmp_eq_u32 s33, -1                                       // 000000002148: BF06C121
	s_cselect_b32 s21, 1, 0                                    // 00000000214C: 85158081
	s_cbranch_scc0 label_0160                                  // 000000002150: BF84000B
	s_add_u32 s42, s21, s42                                    // 000000002154: 802A2A15
	s_mov_b32 s22, s34                                         // 000000002158: BE960022
	s_cmp_eq_u32 s34, -1                                       // 00000000215C: BF06C122
	s_cselect_b32 s21, 1, 0                                    // 000000002160: 85158081
	s_cbranch_scc0 label_0160                                  // 000000002164: BF840006
	s_add_u32 s42, s21, s42                                    // 000000002168: 802A2A15
	s_mov_b32 s22, s35                                         // 00000000216C: BE960023
	s_cmp_eq_u32 s35, -1                                       // 000000002170: BF06C123
	s_cselect_b32 s21, 1, 0                                    // 000000002174: 85158081
	s_cbranch_scc0 label_0160                                  // 000000002178: BF840001
	s_add_u32 s42, s21, s42                                    // 00000000217C: 802A2A15

0000000000002180 <label_0160>:
	s_set_gpr_idx_on s42, gpr_idx(DST)                         // 000000002180: BF11082A
	v_writelane_b32 v11, 0, s22                                // 000000002184: D28A000B 00002C80
	s_set_gpr_idx_off                                          // 00000000218C: BF9C0000
	s_mul_i32 s42, 64, s42                                     // 000000002190: 922A2AC0
	s_add_u32 s42, s22, s42                                    // 000000002194: 802A2A16
	v_writelane_b32 v15, s42, 2                                // 000000002198: D28A000F 0001042A
	v_max_f32_e32 v19, v11, v12                                // 0000000021A0: 1626190B
	v_max3_f32 v19, v19, v13, v14                              // 0000000021A4: D1D30013 043A1B13
	s_nop 1                                                    // 0000000021AC: BF800001
	v_max_f32_dpp v4, v19, v19 quad_perm:[1,0,3,2] row_mask:0xf bank_mask:0xf// 0000000021B0: 160826FA FF00B113
	s_nop 1                                                    // 0000000021B8: BF800001
	v_max_f32_dpp v4, v4, v4 quad_perm:[2,3,0,1] row_mask:0xf bank_mask:0xf// 0000000021BC: 160808FA FF004E04
	s_nop 1                                                    // 0000000021C4: BF800001
	v_max_f32_dpp v4, v4, v4 row_shr:4 row_mask:0xf bank_mask:0xf// 0000000021C8: 160808FA FF011404
	s_nop 1                                                    // 0000000021D0: BF800001
	v_max_f32_dpp v4, v4, v4 row_shr:8 row_mask:0xf bank_mask:0xf// 0000000021D4: 160808FA FF011804
	s_nop 1                                                    // 0000000021DC: BF800001
	v_max_f32_dpp v4, v4, v4 row_bcast:15 row_mask:0xf bank_mask:0xf// 0000000021E0: 160808FA FF014204
	s_nop 1                                                    // 0000000021E8: BF800001
	v_max_f32_dpp v4, v4, v4 row_bcast:31 row_mask:0xf bank_mask:0xf// 0000000021EC: 160808FA FF014304
	s_nop 0                                                    // 0000000021F4: BF800000
	v_readlane_b32 s20, v4, 63                                 // 0000000021F8: D2890014 00017F04
	v_mov_b32_e32 v19, s20                                     // 000000002200: 7E260214
	v_cmp_eq_f32_e64 s[24:25], v19, v11                        // 000000002204: D0420018 00021713
	v_cmp_eq_f32_e64 s[26:27], v19, v12                        // 00000000220C: D042001A 00021913
	v_cmp_eq_f32_e64 s[28:29], v19, v13                        // 000000002214: D042001C 00021B13
	v_cmp_eq_f32_e64 s[30:31], v19, v14                        // 00000000221C: D042001E 00021D13
	s_ff1_i32_b64 s32, s[24:25]                                // 000000002224: BEA01118
	s_ff1_i32_b64 s33, s[26:27]                                // 000000002228: BEA1111A
	s_ff1_i32_b64 s34, s[28:29]                                // 00000000222C: BEA2111C
	s_ff1_i32_b64 s35, s[30:31]                                // 000000002230: BEA3111E
	v_readlane_b32 s20, v19, 0                                 // 000000002234: D2890014 00010113
	v_writelane_b32 v16, s20, 3                                // 00000000223C: D28A0010 00010614
	s_mov_b32 s22, s32                                         // 000000002244: BE960020
	s_cmp_eq_u32 s32, -1                                       // 000000002248: BF06C120
	s_cselect_b32 s21, 1, 0                                    // 00000000224C: 85158081
	s_cbranch_scc0 label_01A5                                  // 000000002250: BF840010
	s_add_u32 s43, s21, s43                                    // 000000002254: 802B2B15
	s_mov_b32 s22, s33                                         // 000000002258: BE960021
	s_cmp_eq_u32 s33, -1                                       // 00000000225C: BF06C121
	s_cselect_b32 s21, 1, 0                                    // 000000002260: 85158081
	s_cbranch_scc0 label_01A5                                  // 000000002264: BF84000B
	s_add_u32 s43, s21, s43                                    // 000000002268: 802B2B15
	s_mov_b32 s22, s34                                         // 00000000226C: BE960022
	s_cmp_eq_u32 s34, -1                                       // 000000002270: BF06C122
	s_cselect_b32 s21, 1, 0                                    // 000000002274: 85158081
	s_cbranch_scc0 label_01A5                                  // 000000002278: BF840006
	s_add_u32 s43, s21, s43                                    // 00000000227C: 802B2B15
	s_mov_b32 s22, s35                                         // 000000002280: BE960023
	s_cmp_eq_u32 s35, -1                                       // 000000002284: BF06C123
	s_cselect_b32 s21, 1, 0                                    // 000000002288: 85158081
	s_cbranch_scc0 label_01A5                                  // 00000000228C: BF840001
	s_add_u32 s43, s21, s43                                    // 000000002290: 802B2B15

0000000000002294 <label_01A5>:
	s_set_gpr_idx_on s43, gpr_idx(DST)                         // 000000002294: BF11082B
	v_writelane_b32 v11, 0, s22                                // 000000002298: D28A000B 00002C80
	s_set_gpr_idx_off                                          // 0000000022A0: BF9C0000
	s_mul_i32 s43, 64, s43                                     // 0000000022A4: 922B2BC0
	s_add_u32 s43, s22, s43                                    // 0000000022A8: 802B2B16
	v_writelane_b32 v15, s43, 3                                // 0000000022AC: D28A000F 0001062B
	v_max_f32_e32 v19, v11, v12                                // 0000000022B4: 1626190B
	v_max3_f32 v19, v19, v13, v14                              // 0000000022B8: D1D30013 043A1B13
	s_nop 1                                                    // 0000000022C0: BF800001
	v_max_f32_dpp v4, v19, v19 quad_perm:[1,0,3,2] row_mask:0xf bank_mask:0xf// 0000000022C4: 160826FA FF00B113
	s_nop 1                                                    // 0000000022CC: BF800001
	v_max_f32_dpp v4, v4, v4 quad_perm:[2,3,0,1] row_mask:0xf bank_mask:0xf// 0000000022D0: 160808FA FF004E04
	s_nop 1                                                    // 0000000022D8: BF800001
	v_max_f32_dpp v4, v4, v4 row_shr:4 row_mask:0xf bank_mask:0xf// 0000000022DC: 160808FA FF011404
	s_nop 1                                                    // 0000000022E4: BF800001
	v_max_f32_dpp v4, v4, v4 row_shr:8 row_mask:0xf bank_mask:0xf// 0000000022E8: 160808FA FF011804
	s_nop 1                                                    // 0000000022F0: BF800001
	v_max_f32_dpp v4, v4, v4 row_bcast:15 row_mask:0xf bank_mask:0xf// 0000000022F4: 160808FA FF014204
	s_nop 1                                                    // 0000000022FC: BF800001
	v_max_f32_dpp v4, v4, v4 row_bcast:31 row_mask:0xf bank_mask:0xf// 000000002300: 160808FA FF014304
	s_nop 0                                                    // 000000002308: BF800000
	v_readlane_b32 s20, v4, 63                                 // 00000000230C: D2890014 00017F04
	v_mov_b32_e32 v19, s20                                     // 000000002314: 7E260214
	v_cmp_eq_f32_e64 s[24:25], v19, v11                        // 000000002318: D0420018 00021713
	v_cmp_eq_f32_e64 s[26:27], v19, v12                        // 000000002320: D042001A 00021913
	v_cmp_eq_f32_e64 s[28:29], v19, v13                        // 000000002328: D042001C 00021B13
	v_cmp_eq_f32_e64 s[30:31], v19, v14                        // 000000002330: D042001E 00021D13
	s_ff1_i32_b64 s32, s[24:25]                                // 000000002338: BEA01118
	s_ff1_i32_b64 s33, s[26:27]                                // 00000000233C: BEA1111A
	s_ff1_i32_b64 s34, s[28:29]                                // 000000002340: BEA2111C
	s_ff1_i32_b64 s35, s[30:31]                                // 000000002344: BEA3111E
	v_readlane_b32 s20, v19, 0                                 // 000000002348: D2890014 00010113
	v_writelane_b32 v16, s20, 4                                // 000000002350: D28A0010 00010814
	s_mov_b32 s22, s32                                         // 000000002358: BE960020
	s_cmp_eq_u32 s32, -1                                       // 00000000235C: BF06C120
	s_cselect_b32 s21, 1, 0                                    // 000000002360: 85158081
	s_cbranch_scc0 label_01EA                                  // 000000002364: BF840010
	s_add_u32 s44, s21, s44                                    // 000000002368: 802C2C15
	s_mov_b32 s22, s33                                         // 00000000236C: BE960021
	s_cmp_eq_u32 s33, -1                                       // 000000002370: BF06C121
	s_cselect_b32 s21, 1, 0                                    // 000000002374: 85158081
	s_cbranch_scc0 label_01EA                                  // 000000002378: BF84000B
	s_add_u32 s44, s21, s44                                    // 00000000237C: 802C2C15
	s_mov_b32 s22, s34                                         // 000000002380: BE960022
	s_cmp_eq_u32 s34, -1                                       // 000000002384: BF06C122
	s_cselect_b32 s21, 1, 0                                    // 000000002388: 85158081
	s_cbranch_scc0 label_01EA                                  // 00000000238C: BF840006
	s_add_u32 s44, s21, s44                                    // 000000002390: 802C2C15
	s_mov_b32 s22, s35                                         // 000000002394: BE960023
	s_cmp_eq_u32 s35, -1                                       // 000000002398: BF06C123
	s_cselect_b32 s21, 1, 0                                    // 00000000239C: 85158081
	s_cbranch_scc0 label_01EA                                  // 0000000023A0: BF840001
	s_add_u32 s44, s21, s44                                    // 0000000023A4: 802C2C15

00000000000023a8 <label_01EA>:
	s_set_gpr_idx_on s44, gpr_idx(DST)                         // 0000000023A8: BF11082C
	v_writelane_b32 v11, 0, s22                                // 0000000023AC: D28A000B 00002C80
	s_set_gpr_idx_off                                          // 0000000023B4: BF9C0000
	s_mul_i32 s44, 64, s44                                     // 0000000023B8: 922C2CC0
	s_add_u32 s44, s22, s44                                    // 0000000023BC: 802C2C16
	v_writelane_b32 v15, s44, 4                                // 0000000023C0: D28A000F 0001082C
	v_max_f32_e32 v19, v11, v12                                // 0000000023C8: 1626190B
	v_max3_f32 v19, v19, v13, v14                              // 0000000023CC: D1D30013 043A1B13
	s_nop 1                                                    // 0000000023D4: BF800001
	v_max_f32_dpp v4, v19, v19 quad_perm:[1,0,3,2] row_mask:0xf bank_mask:0xf// 0000000023D8: 160826FA FF00B113
	s_nop 1                                                    // 0000000023E0: BF800001
	v_max_f32_dpp v4, v4, v4 quad_perm:[2,3,0,1] row_mask:0xf bank_mask:0xf// 0000000023E4: 160808FA FF004E04
	s_nop 1                                                    // 0000000023EC: BF800001
	v_max_f32_dpp v4, v4, v4 row_shr:4 row_mask:0xf bank_mask:0xf// 0000000023F0: 160808FA FF011404
	s_nop 1                                                    // 0000000023F8: BF800001
	v_max_f32_dpp v4, v4, v4 row_shr:8 row_mask:0xf bank_mask:0xf// 0000000023FC: 160808FA FF011804
	s_nop 1                                                    // 000000002404: BF800001
	v_max_f32_dpp v4, v4, v4 row_bcast:15 row_mask:0xf bank_mask:0xf// 000000002408: 160808FA FF014204
	s_nop 1                                                    // 000000002410: BF800001
	v_max_f32_dpp v4, v4, v4 row_bcast:31 row_mask:0xf bank_mask:0xf// 000000002414: 160808FA FF014304
	s_nop 0                                                    // 00000000241C: BF800000
	v_readlane_b32 s20, v4, 63                                 // 000000002420: D2890014 00017F04
	v_mov_b32_e32 v19, s20                                     // 000000002428: 7E260214
	v_cmp_eq_f32_e64 s[24:25], v19, v11                        // 00000000242C: D0420018 00021713
	v_cmp_eq_f32_e64 s[26:27], v19, v12                        // 000000002434: D042001A 00021913
	v_cmp_eq_f32_e64 s[28:29], v19, v13                        // 00000000243C: D042001C 00021B13
	v_cmp_eq_f32_e64 s[30:31], v19, v14                        // 000000002444: D042001E 00021D13
	s_ff1_i32_b64 s32, s[24:25]                                // 00000000244C: BEA01118
	s_ff1_i32_b64 s33, s[26:27]                                // 000000002450: BEA1111A
	s_ff1_i32_b64 s34, s[28:29]                                // 000000002454: BEA2111C
	s_ff1_i32_b64 s35, s[30:31]                                // 000000002458: BEA3111E
	v_readlane_b32 s20, v19, 0                                 // 00000000245C: D2890014 00010113
	v_writelane_b32 v16, s20, 5                                // 000000002464: D28A0010 00010A14
	s_mov_b32 s22, s32                                         // 00000000246C: BE960020
	s_cmp_eq_u32 s32, -1                                       // 000000002470: BF06C120
	s_cselect_b32 s21, 1, 0                                    // 000000002474: 85158081
	s_cbranch_scc0 label_022F                                  // 000000002478: BF840010
	s_add_u32 s45, s21, s45                                    // 00000000247C: 802D2D15
	s_mov_b32 s22, s33                                         // 000000002480: BE960021
	s_cmp_eq_u32 s33, -1                                       // 000000002484: BF06C121
	s_cselect_b32 s21, 1, 0                                    // 000000002488: 85158081
	s_cbranch_scc0 label_022F                                  // 00000000248C: BF84000B
	s_add_u32 s45, s21, s45                                    // 000000002490: 802D2D15
	s_mov_b32 s22, s34                                         // 000000002494: BE960022
	s_cmp_eq_u32 s34, -1                                       // 000000002498: BF06C122
	s_cselect_b32 s21, 1, 0                                    // 00000000249C: 85158081
	s_cbranch_scc0 label_022F                                  // 0000000024A0: BF840006
	s_add_u32 s45, s21, s45                                    // 0000000024A4: 802D2D15
	s_mov_b32 s22, s35                                         // 0000000024A8: BE960023
	s_cmp_eq_u32 s35, -1                                       // 0000000024AC: BF06C123
	s_cselect_b32 s21, 1, 0                                    // 0000000024B0: 85158081
	s_cbranch_scc0 label_022F                                  // 0000000024B4: BF840001
	s_add_u32 s45, s21, s45                                    // 0000000024B8: 802D2D15

00000000000024bc <label_022F>:
	s_set_gpr_idx_on s45, gpr_idx(DST)                         // 0000000024BC: BF11082D
	v_writelane_b32 v11, 0, s22                                // 0000000024C0: D28A000B 00002C80
	s_set_gpr_idx_off                                          // 0000000024C8: BF9C0000
	s_mul_i32 s45, 64, s45                                     // 0000000024CC: 922D2DC0
	s_add_u32 s45, s22, s45                                    // 0000000024D0: 802D2D16
	v_writelane_b32 v15, s45, 5                                // 0000000024D4: D28A000F 00010A2D
	s_bfm_b64 exec, s18, 0                                     // 0000000024DC: 91FE8012
	buffer_store_dword v15, v9, s[4:7], 0 offen                // 0000000024E0: E0701000 80010F09
	buffer_store_dword v16, v10, s[8:11], 0 offen              // 0000000024E8: E0701000 8002100A
	s_branch label_03E9                                        // 0000000024F0: BF8201AC

00000000000024f4 <label_023D>:
	v_max_f32_e32 v19, v11, v12                                // 0000000024F4: 1626190B
	v_max3_f32 v19, v19, v13, v14                              // 0000000024F8: D1D30013 043A1B13
	s_nop 1                                                    // 000000002500: BF800001
	v_max_f32_dpp v4, v19, v19 quad_perm:[1,0,3,2] row_mask:0xf bank_mask:0xf// 000000002504: 160826FA FF00B113
	s_nop 1                                                    // 00000000250C: BF800001
	v_max_f32_dpp v4, v4, v4 quad_perm:[2,3,0,1] row_mask:0xf bank_mask:0xf// 000000002510: 160808FA FF004E04
	s_nop 1                                                    // 000000002518: BF800001
	v_max_f32_dpp v4, v4, v4 row_shr:4 row_mask:0xf bank_mask:0xf// 00000000251C: 160808FA FF011404
	s_nop 1                                                    // 000000002524: BF800001
	v_max_f32_dpp v4, v4, v4 row_shr:8 row_mask:0xf bank_mask:0xf// 000000002528: 160808FA FF011804
	s_nop 1                                                    // 000000002530: BF800001
	v_max_f32_dpp v4, v4, v4 row_bcast:15 row_mask:0xf bank_mask:0xf// 000000002534: 160808FA FF014204
	s_nop 1                                                    // 00000000253C: BF800001
	v_max_f32_dpp v4, v4, v4 row_bcast:31 row_mask:0xf bank_mask:0xf// 000000002540: 160808FA FF014304
	s_nop 0                                                    // 000000002548: BF800000
	v_readlane_b32 s20, v4, 63                                 // 00000000254C: D2890014 00017F04
	v_mov_b32_e32 v19, s20                                     // 000000002554: 7E260214
	v_add_f32_e32 v21, v21, v19                                // 000000002558: 022A2715
	v_cmp_eq_f32_e64 s[24:25], v19, v11                        // 00000000255C: D0420018 00021713
	v_cmp_eq_f32_e64 s[26:27], v19, v12                        // 000000002564: D042001A 00021913
	v_cmp_eq_f32_e64 s[28:29], v19, v13                        // 00000000256C: D042001C 00021B13
	v_cmp_eq_f32_e64 s[30:31], v19, v14                        // 000000002574: D042001E 00021D13
	s_ff1_i32_b64 s32, s[24:25]                                // 00000000257C: BEA01118
	s_ff1_i32_b64 s33, s[26:27]                                // 000000002580: BEA1111A
	s_ff1_i32_b64 s34, s[28:29]                                // 000000002584: BEA2111C
	s_ff1_i32_b64 s35, s[30:31]                                // 000000002588: BEA3111E
	v_readlane_b32 s20, v19, 0                                 // 00000000258C: D2890014 00010113
	v_writelane_b32 v16, s20, 0                                // 000000002594: D28A0010 00010014
	s_mov_b32 s22, s32                                         // 00000000259C: BE960020
	s_cmp_eq_u32 s32, -1                                       // 0000000025A0: BF06C120
	s_cselect_b32 s21, 1, 0                                    // 0000000025A4: 85158081
	s_cbranch_scc0 label_027B                                  // 0000000025A8: BF840010
	s_add_u32 s40, s21, s40                                    // 0000000025AC: 80282815
	s_mov_b32 s22, s33                                         // 0000000025B0: BE960021
	s_cmp_eq_u32 s33, -1                                       // 0000000025B4: BF06C121
	s_cselect_b32 s21, 1, 0                                    // 0000000025B8: 85158081
	s_cbranch_scc0 label_027B                                  // 0000000025BC: BF84000B
	s_add_u32 s40, s21, s40                                    // 0000000025C0: 80282815
	s_mov_b32 s22, s34                                         // 0000000025C4: BE960022
	s_cmp_eq_u32 s34, -1                                       // 0000000025C8: BF06C122
	s_cselect_b32 s21, 1, 0                                    // 0000000025CC: 85158081
	s_cbranch_scc0 label_027B                                  // 0000000025D0: BF840006
	s_add_u32 s40, s21, s40                                    // 0000000025D4: 80282815
	s_mov_b32 s22, s35                                         // 0000000025D8: BE960023
	s_cmp_eq_u32 s35, -1                                       // 0000000025DC: BF06C123
	s_cselect_b32 s21, 1, 0                                    // 0000000025E0: 85158081
	s_cbranch_scc0 label_027B                                  // 0000000025E4: BF840001
	s_add_u32 s40, s21, s40                                    // 0000000025E8: 80282815

00000000000025ec <label_027B>:
	s_set_gpr_idx_on s40, gpr_idx(DST)                         // 0000000025EC: BF110828
	v_writelane_b32 v11, 0, s22                                // 0000000025F0: D28A000B 00002C80
	s_set_gpr_idx_off                                          // 0000000025F8: BF9C0000
	s_mul_i32 s40, 64, s40                                     // 0000000025FC: 922828C0
	s_add_u32 s40, s22, s40                                    // 000000002600: 80282816
	v_writelane_b32 v15, s40, 0                                // 000000002604: D28A000F 00010028
	v_max_f32_e32 v19, v11, v12                                // 00000000260C: 1626190B
	v_max3_f32 v19, v19, v13, v14                              // 000000002610: D1D30013 043A1B13
	s_nop 1                                                    // 000000002618: BF800001
	v_max_f32_dpp v4, v19, v19 quad_perm:[1,0,3,2] row_mask:0xf bank_mask:0xf// 00000000261C: 160826FA FF00B113
	s_nop 1                                                    // 000000002624: BF800001
	v_max_f32_dpp v4, v4, v4 quad_perm:[2,3,0,1] row_mask:0xf bank_mask:0xf// 000000002628: 160808FA FF004E04
	s_nop 1                                                    // 000000002630: BF800001
	v_max_f32_dpp v4, v4, v4 row_shr:4 row_mask:0xf bank_mask:0xf// 000000002634: 160808FA FF011404
	s_nop 1                                                    // 00000000263C: BF800001
	v_max_f32_dpp v4, v4, v4 row_shr:8 row_mask:0xf bank_mask:0xf// 000000002640: 160808FA FF011804
	s_nop 1                                                    // 000000002648: BF800001
	v_max_f32_dpp v4, v4, v4 row_bcast:15 row_mask:0xf bank_mask:0xf// 00000000264C: 160808FA FF014204
	s_nop 1                                                    // 000000002654: BF800001
	v_max_f32_dpp v4, v4, v4 row_bcast:31 row_mask:0xf bank_mask:0xf// 000000002658: 160808FA FF014304
	s_nop 0                                                    // 000000002660: BF800000
	v_readlane_b32 s20, v4, 63                                 // 000000002664: D2890014 00017F04
	v_mov_b32_e32 v19, s20                                     // 00000000266C: 7E260214
	v_add_f32_e32 v21, v21, v19                                // 000000002670: 022A2715
	v_cmp_eq_f32_e64 s[24:25], v19, v11                        // 000000002674: D0420018 00021713
	v_cmp_eq_f32_e64 s[26:27], v19, v12                        // 00000000267C: D042001A 00021913
	v_cmp_eq_f32_e64 s[28:29], v19, v13                        // 000000002684: D042001C 00021B13
	v_cmp_eq_f32_e64 s[30:31], v19, v14                        // 00000000268C: D042001E 00021D13
	s_ff1_i32_b64 s32, s[24:25]                                // 000000002694: BEA01118
	s_ff1_i32_b64 s33, s[26:27]                                // 000000002698: BEA1111A
	s_ff1_i32_b64 s34, s[28:29]                                // 00000000269C: BEA2111C
	s_ff1_i32_b64 s35, s[30:31]                                // 0000000026A0: BEA3111E
	v_readlane_b32 s20, v19, 0                                 // 0000000026A4: D2890014 00010113
	v_writelane_b32 v16, s20, 1                                // 0000000026AC: D28A0010 00010214
	s_mov_b32 s22, s32                                         // 0000000026B4: BE960020
	s_cmp_eq_u32 s32, -1                                       // 0000000026B8: BF06C120
	s_cselect_b32 s21, 1, 0                                    // 0000000026BC: 85158081
	s_cbranch_scc0 label_02C1                                  // 0000000026C0: BF840010
	s_add_u32 s41, s21, s41                                    // 0000000026C4: 80292915
	s_mov_b32 s22, s33                                         // 0000000026C8: BE960021
	s_cmp_eq_u32 s33, -1                                       // 0000000026CC: BF06C121
	s_cselect_b32 s21, 1, 0                                    // 0000000026D0: 85158081
	s_cbranch_scc0 label_02C1                                  // 0000000026D4: BF84000B
	s_add_u32 s41, s21, s41                                    // 0000000026D8: 80292915
	s_mov_b32 s22, s34                                         // 0000000026DC: BE960022
	s_cmp_eq_u32 s34, -1                                       // 0000000026E0: BF06C122
	s_cselect_b32 s21, 1, 0                                    // 0000000026E4: 85158081
	s_cbranch_scc0 label_02C1                                  // 0000000026E8: BF840006
	s_add_u32 s41, s21, s41                                    // 0000000026EC: 80292915
	s_mov_b32 s22, s35                                         // 0000000026F0: BE960023
	s_cmp_eq_u32 s35, -1                                       // 0000000026F4: BF06C123
	s_cselect_b32 s21, 1, 0                                    // 0000000026F8: 85158081
	s_cbranch_scc0 label_02C1                                  // 0000000026FC: BF840001
	s_add_u32 s41, s21, s41                                    // 000000002700: 80292915

0000000000002704 <label_02C1>:
	s_set_gpr_idx_on s41, gpr_idx(DST)                         // 000000002704: BF110829
	v_writelane_b32 v11, 0, s22                                // 000000002708: D28A000B 00002C80
	s_set_gpr_idx_off                                          // 000000002710: BF9C0000
	s_mul_i32 s41, 64, s41                                     // 000000002714: 922929C0
	s_add_u32 s41, s22, s41                                    // 000000002718: 80292916
	v_writelane_b32 v15, s41, 1                                // 00000000271C: D28A000F 00010229
	v_max_f32_e32 v19, v11, v12                                // 000000002724: 1626190B
	v_max3_f32 v19, v19, v13, v14                              // 000000002728: D1D30013 043A1B13
	s_nop 1                                                    // 000000002730: BF800001
	v_max_f32_dpp v4, v19, v19 quad_perm:[1,0,3,2] row_mask:0xf bank_mask:0xf// 000000002734: 160826FA FF00B113
	s_nop 1                                                    // 00000000273C: BF800001
	v_max_f32_dpp v4, v4, v4 quad_perm:[2,3,0,1] row_mask:0xf bank_mask:0xf// 000000002740: 160808FA FF004E04
	s_nop 1                                                    // 000000002748: BF800001
	v_max_f32_dpp v4, v4, v4 row_shr:4 row_mask:0xf bank_mask:0xf// 00000000274C: 160808FA FF011404
	s_nop 1                                                    // 000000002754: BF800001
	v_max_f32_dpp v4, v4, v4 row_shr:8 row_mask:0xf bank_mask:0xf// 000000002758: 160808FA FF011804
	s_nop 1                                                    // 000000002760: BF800001
	v_max_f32_dpp v4, v4, v4 row_bcast:15 row_mask:0xf bank_mask:0xf// 000000002764: 160808FA FF014204
	s_nop 1                                                    // 00000000276C: BF800001
	v_max_f32_dpp v4, v4, v4 row_bcast:31 row_mask:0xf bank_mask:0xf// 000000002770: 160808FA FF014304
	s_nop 0                                                    // 000000002778: BF800000
	v_readlane_b32 s20, v4, 63                                 // 00000000277C: D2890014 00017F04
	v_mov_b32_e32 v19, s20                                     // 000000002784: 7E260214
	v_add_f32_e32 v21, v21, v19                                // 000000002788: 022A2715
	v_cmp_eq_f32_e64 s[24:25], v19, v11                        // 00000000278C: D0420018 00021713
	v_cmp_eq_f32_e64 s[26:27], v19, v12                        // 000000002794: D042001A 00021913
	v_cmp_eq_f32_e64 s[28:29], v19, v13                        // 00000000279C: D042001C 00021B13
	v_cmp_eq_f32_e64 s[30:31], v19, v14                        // 0000000027A4: D042001E 00021D13
	s_ff1_i32_b64 s32, s[24:25]                                // 0000000027AC: BEA01118
	s_ff1_i32_b64 s33, s[26:27]                                // 0000000027B0: BEA1111A
	s_ff1_i32_b64 s34, s[28:29]                                // 0000000027B4: BEA2111C
	s_ff1_i32_b64 s35, s[30:31]                                // 0000000027B8: BEA3111E
	v_readlane_b32 s20, v19, 0                                 // 0000000027BC: D2890014 00010113
	v_writelane_b32 v16, s20, 2                                // 0000000027C4: D28A0010 00010414
	s_mov_b32 s22, s32                                         // 0000000027CC: BE960020
	s_cmp_eq_u32 s32, -1                                       // 0000000027D0: BF06C120
	s_cselect_b32 s21, 1, 0                                    // 0000000027D4: 85158081
	s_cbranch_scc0 label_0307                                  // 0000000027D8: BF840010
	s_add_u32 s42, s21, s42                                    // 0000000027DC: 802A2A15
	s_mov_b32 s22, s33                                         // 0000000027E0: BE960021
	s_cmp_eq_u32 s33, -1                                       // 0000000027E4: BF06C121
	s_cselect_b32 s21, 1, 0                                    // 0000000027E8: 85158081
	s_cbranch_scc0 label_0307                                  // 0000000027EC: BF84000B
	s_add_u32 s42, s21, s42                                    // 0000000027F0: 802A2A15
	s_mov_b32 s22, s34                                         // 0000000027F4: BE960022
	s_cmp_eq_u32 s34, -1                                       // 0000000027F8: BF06C122
	s_cselect_b32 s21, 1, 0                                    // 0000000027FC: 85158081
	s_cbranch_scc0 label_0307                                  // 000000002800: BF840006
	s_add_u32 s42, s21, s42                                    // 000000002804: 802A2A15
	s_mov_b32 s22, s35                                         // 000000002808: BE960023
	s_cmp_eq_u32 s35, -1                                       // 00000000280C: BF06C123
	s_cselect_b32 s21, 1, 0                                    // 000000002810: 85158081
	s_cbranch_scc0 label_0307                                  // 000000002814: BF840001
	s_add_u32 s42, s21, s42                                    // 000000002818: 802A2A15

000000000000281c <label_0307>:
	s_set_gpr_idx_on s42, gpr_idx(DST)                         // 00000000281C: BF11082A
	v_writelane_b32 v11, 0, s22                                // 000000002820: D28A000B 00002C80
	s_set_gpr_idx_off                                          // 000000002828: BF9C0000
	s_mul_i32 s42, 64, s42                                     // 00000000282C: 922A2AC0
	s_add_u32 s42, s22, s42                                    // 000000002830: 802A2A16
	v_writelane_b32 v15, s42, 2                                // 000000002834: D28A000F 0001042A
	v_max_f32_e32 v19, v11, v12                                // 00000000283C: 1626190B
	v_max3_f32 v19, v19, v13, v14                              // 000000002840: D1D30013 043A1B13
	s_nop 1                                                    // 000000002848: BF800001
	v_max_f32_dpp v4, v19, v19 quad_perm:[1,0,3,2] row_mask:0xf bank_mask:0xf// 00000000284C: 160826FA FF00B113
	s_nop 1                                                    // 000000002854: BF800001
	v_max_f32_dpp v4, v4, v4 quad_perm:[2,3,0,1] row_mask:0xf bank_mask:0xf// 000000002858: 160808FA FF004E04
	s_nop 1                                                    // 000000002860: BF800001
	v_max_f32_dpp v4, v4, v4 row_shr:4 row_mask:0xf bank_mask:0xf// 000000002864: 160808FA FF011404
	s_nop 1                                                    // 00000000286C: BF800001
	v_max_f32_dpp v4, v4, v4 row_shr:8 row_mask:0xf bank_mask:0xf// 000000002870: 160808FA FF011804
	s_nop 1                                                    // 000000002878: BF800001
	v_max_f32_dpp v4, v4, v4 row_bcast:15 row_mask:0xf bank_mask:0xf// 00000000287C: 160808FA FF014204
	s_nop 1                                                    // 000000002884: BF800001
	v_max_f32_dpp v4, v4, v4 row_bcast:31 row_mask:0xf bank_mask:0xf// 000000002888: 160808FA FF014304
	s_nop 0                                                    // 000000002890: BF800000
	v_readlane_b32 s20, v4, 63                                 // 000000002894: D2890014 00017F04
	v_mov_b32_e32 v19, s20                                     // 00000000289C: 7E260214
	v_add_f32_e32 v21, v21, v19                                // 0000000028A0: 022A2715
	v_cmp_eq_f32_e64 s[24:25], v19, v11                        // 0000000028A4: D0420018 00021713
	v_cmp_eq_f32_e64 s[26:27], v19, v12                        // 0000000028AC: D042001A 00021913
	v_cmp_eq_f32_e64 s[28:29], v19, v13                        // 0000000028B4: D042001C 00021B13
	v_cmp_eq_f32_e64 s[30:31], v19, v14                        // 0000000028BC: D042001E 00021D13
	s_ff1_i32_b64 s32, s[24:25]                                // 0000000028C4: BEA01118
	s_ff1_i32_b64 s33, s[26:27]                                // 0000000028C8: BEA1111A
	s_ff1_i32_b64 s34, s[28:29]                                // 0000000028CC: BEA2111C
	s_ff1_i32_b64 s35, s[30:31]                                // 0000000028D0: BEA3111E
	v_readlane_b32 s20, v19, 0                                 // 0000000028D4: D2890014 00010113
	v_writelane_b32 v16, s20, 3                                // 0000000028DC: D28A0010 00010614
	s_mov_b32 s22, s32                                         // 0000000028E4: BE960020
	s_cmp_eq_u32 s32, -1                                       // 0000000028E8: BF06C120
	s_cselect_b32 s21, 1, 0                                    // 0000000028EC: 85158081
	s_cbranch_scc0 label_034D                                  // 0000000028F0: BF840010
	s_add_u32 s43, s21, s43                                    // 0000000028F4: 802B2B15
	s_mov_b32 s22, s33                                         // 0000000028F8: BE960021
	s_cmp_eq_u32 s33, -1                                       // 0000000028FC: BF06C121
	s_cselect_b32 s21, 1, 0                                    // 000000002900: 85158081
	s_cbranch_scc0 label_034D                                  // 000000002904: BF84000B
	s_add_u32 s43, s21, s43                                    // 000000002908: 802B2B15
	s_mov_b32 s22, s34                                         // 00000000290C: BE960022
	s_cmp_eq_u32 s34, -1                                       // 000000002910: BF06C122
	s_cselect_b32 s21, 1, 0                                    // 000000002914: 85158081
	s_cbranch_scc0 label_034D                                  // 000000002918: BF840006
	s_add_u32 s43, s21, s43                                    // 00000000291C: 802B2B15
	s_mov_b32 s22, s35                                         // 000000002920: BE960023
	s_cmp_eq_u32 s35, -1                                       // 000000002924: BF06C123
	s_cselect_b32 s21, 1, 0                                    // 000000002928: 85158081
	s_cbranch_scc0 label_034D                                  // 00000000292C: BF840001
	s_add_u32 s43, s21, s43                                    // 000000002930: 802B2B15

0000000000002934 <label_034D>:
	s_set_gpr_idx_on s43, gpr_idx(DST)                         // 000000002934: BF11082B
	v_writelane_b32 v11, 0, s22                                // 000000002938: D28A000B 00002C80
	s_set_gpr_idx_off                                          // 000000002940: BF9C0000
	s_mul_i32 s43, 64, s43                                     // 000000002944: 922B2BC0
	s_add_u32 s43, s22, s43                                    // 000000002948: 802B2B16
	v_writelane_b32 v15, s43, 3                                // 00000000294C: D28A000F 0001062B
	v_max_f32_e32 v19, v11, v12                                // 000000002954: 1626190B
	v_max3_f32 v19, v19, v13, v14                              // 000000002958: D1D30013 043A1B13
	s_nop 1                                                    // 000000002960: BF800001
	v_max_f32_dpp v4, v19, v19 quad_perm:[1,0,3,2] row_mask:0xf bank_mask:0xf// 000000002964: 160826FA FF00B113
	s_nop 1                                                    // 00000000296C: BF800001
	v_max_f32_dpp v4, v4, v4 quad_perm:[2,3,0,1] row_mask:0xf bank_mask:0xf// 000000002970: 160808FA FF004E04
	s_nop 1                                                    // 000000002978: BF800001
	v_max_f32_dpp v4, v4, v4 row_shr:4 row_mask:0xf bank_mask:0xf// 00000000297C: 160808FA FF011404
	s_nop 1                                                    // 000000002984: BF800001
	v_max_f32_dpp v4, v4, v4 row_shr:8 row_mask:0xf bank_mask:0xf// 000000002988: 160808FA FF011804
	s_nop 1                                                    // 000000002990: BF800001
	v_max_f32_dpp v4, v4, v4 row_bcast:15 row_mask:0xf bank_mask:0xf// 000000002994: 160808FA FF014204
	s_nop 1                                                    // 00000000299C: BF800001
	v_max_f32_dpp v4, v4, v4 row_bcast:31 row_mask:0xf bank_mask:0xf// 0000000029A0: 160808FA FF014304
	s_nop 0                                                    // 0000000029A8: BF800000
	v_readlane_b32 s20, v4, 63                                 // 0000000029AC: D2890014 00017F04
	v_mov_b32_e32 v19, s20                                     // 0000000029B4: 7E260214
	v_add_f32_e32 v21, v21, v19                                // 0000000029B8: 022A2715
	v_cmp_eq_f32_e64 s[24:25], v19, v11                        // 0000000029BC: D0420018 00021713
	v_cmp_eq_f32_e64 s[26:27], v19, v12                        // 0000000029C4: D042001A 00021913
	v_cmp_eq_f32_e64 s[28:29], v19, v13                        // 0000000029CC: D042001C 00021B13
	v_cmp_eq_f32_e64 s[30:31], v19, v14                        // 0000000029D4: D042001E 00021D13
	s_ff1_i32_b64 s32, s[24:25]                                // 0000000029DC: BEA01118
	s_ff1_i32_b64 s33, s[26:27]                                // 0000000029E0: BEA1111A
	s_ff1_i32_b64 s34, s[28:29]                                // 0000000029E4: BEA2111C
	s_ff1_i32_b64 s35, s[30:31]                                // 0000000029E8: BEA3111E
	v_readlane_b32 s20, v19, 0                                 // 0000000029EC: D2890014 00010113
	v_writelane_b32 v16, s20, 4                                // 0000000029F4: D28A0010 00010814
	s_mov_b32 s22, s32                                         // 0000000029FC: BE960020
	s_cmp_eq_u32 s32, -1                                       // 000000002A00: BF06C120
	s_cselect_b32 s21, 1, 0                                    // 000000002A04: 85158081
	s_cbranch_scc0 label_0393                                  // 000000002A08: BF840010
	s_add_u32 s44, s21, s44                                    // 000000002A0C: 802C2C15
	s_mov_b32 s22, s33                                         // 000000002A10: BE960021
	s_cmp_eq_u32 s33, -1                                       // 000000002A14: BF06C121
	s_cselect_b32 s21, 1, 0                                    // 000000002A18: 85158081
	s_cbranch_scc0 label_0393                                  // 000000002A1C: BF84000B
	s_add_u32 s44, s21, s44                                    // 000000002A20: 802C2C15
	s_mov_b32 s22, s34                                         // 000000002A24: BE960022
	s_cmp_eq_u32 s34, -1                                       // 000000002A28: BF06C122
	s_cselect_b32 s21, 1, 0                                    // 000000002A2C: 85158081
	s_cbranch_scc0 label_0393                                  // 000000002A30: BF840006
	s_add_u32 s44, s21, s44                                    // 000000002A34: 802C2C15
	s_mov_b32 s22, s35                                         // 000000002A38: BE960023
	s_cmp_eq_u32 s35, -1                                       // 000000002A3C: BF06C123
	s_cselect_b32 s21, 1, 0                                    // 000000002A40: 85158081
	s_cbranch_scc0 label_0393                                  // 000000002A44: BF840001
	s_add_u32 s44, s21, s44                                    // 000000002A48: 802C2C15

0000000000002a4c <label_0393>:
	s_set_gpr_idx_on s44, gpr_idx(DST)                         // 000000002A4C: BF11082C
	v_writelane_b32 v11, 0, s22                                // 000000002A50: D28A000B 00002C80
	s_set_gpr_idx_off                                          // 000000002A58: BF9C0000
	s_mul_i32 s44, 64, s44                                     // 000000002A5C: 922C2CC0
	s_add_u32 s44, s22, s44                                    // 000000002A60: 802C2C16
	v_writelane_b32 v15, s44, 4                                // 000000002A64: D28A000F 0001082C
	v_max_f32_e32 v19, v11, v12                                // 000000002A6C: 1626190B
	v_max3_f32 v19, v19, v13, v14                              // 000000002A70: D1D30013 043A1B13
	s_nop 1                                                    // 000000002A78: BF800001
	v_max_f32_dpp v4, v19, v19 quad_perm:[1,0,3,2] row_mask:0xf bank_mask:0xf// 000000002A7C: 160826FA FF00B113
	s_nop 1                                                    // 000000002A84: BF800001
	v_max_f32_dpp v4, v4, v4 quad_perm:[2,3,0,1] row_mask:0xf bank_mask:0xf// 000000002A88: 160808FA FF004E04
	s_nop 1                                                    // 000000002A90: BF800001
	v_max_f32_dpp v4, v4, v4 row_shr:4 row_mask:0xf bank_mask:0xf// 000000002A94: 160808FA FF011404
	s_nop 1                                                    // 000000002A9C: BF800001
	v_max_f32_dpp v4, v4, v4 row_shr:8 row_mask:0xf bank_mask:0xf// 000000002AA0: 160808FA FF011804
	s_nop 1                                                    // 000000002AA8: BF800001
	v_max_f32_dpp v4, v4, v4 row_bcast:15 row_mask:0xf bank_mask:0xf// 000000002AAC: 160808FA FF014204
	s_nop 1                                                    // 000000002AB4: BF800001
	v_max_f32_dpp v4, v4, v4 row_bcast:31 row_mask:0xf bank_mask:0xf// 000000002AB8: 160808FA FF014304
	s_nop 0                                                    // 000000002AC0: BF800000
	v_readlane_b32 s20, v4, 63                                 // 000000002AC4: D2890014 00017F04
	v_mov_b32_e32 v19, s20                                     // 000000002ACC: 7E260214
	v_add_f32_e32 v21, v21, v19                                // 000000002AD0: 022A2715
	v_cmp_eq_f32_e64 s[24:25], v19, v11                        // 000000002AD4: D0420018 00021713
	v_cmp_eq_f32_e64 s[26:27], v19, v12                        // 000000002ADC: D042001A 00021913
	v_cmp_eq_f32_e64 s[28:29], v19, v13                        // 000000002AE4: D042001C 00021B13
	v_cmp_eq_f32_e64 s[30:31], v19, v14                        // 000000002AEC: D042001E 00021D13
	s_ff1_i32_b64 s32, s[24:25]                                // 000000002AF4: BEA01118
	s_ff1_i32_b64 s33, s[26:27]                                // 000000002AF8: BEA1111A
	s_ff1_i32_b64 s34, s[28:29]                                // 000000002AFC: BEA2111C
	s_ff1_i32_b64 s35, s[30:31]                                // 000000002B00: BEA3111E
	v_readlane_b32 s20, v19, 0                                 // 000000002B04: D2890014 00010113
	v_writelane_b32 v16, s20, 5                                // 000000002B0C: D28A0010 00010A14
	s_mov_b32 s22, s32                                         // 000000002B14: BE960020
	s_cmp_eq_u32 s32, -1                                       // 000000002B18: BF06C120
	s_cselect_b32 s21, 1, 0                                    // 000000002B1C: 85158081
	s_cbranch_scc0 label_03D9                                  // 000000002B20: BF840010
	s_add_u32 s45, s21, s45                                    // 000000002B24: 802D2D15
	s_mov_b32 s22, s33                                         // 000000002B28: BE960021
	s_cmp_eq_u32 s33, -1                                       // 000000002B2C: BF06C121
	s_cselect_b32 s21, 1, 0                                    // 000000002B30: 85158081
	s_cbranch_scc0 label_03D9                                  // 000000002B34: BF84000B
	s_add_u32 s45, s21, s45                                    // 000000002B38: 802D2D15
	s_mov_b32 s22, s34                                         // 000000002B3C: BE960022
	s_cmp_eq_u32 s34, -1                                       // 000000002B40: BF06C122
	s_cselect_b32 s21, 1, 0                                    // 000000002B44: 85158081
	s_cbranch_scc0 label_03D9                                  // 000000002B48: BF840006
	s_add_u32 s45, s21, s45                                    // 000000002B4C: 802D2D15
	s_mov_b32 s22, s35                                         // 000000002B50: BE960023
	s_cmp_eq_u32 s35, -1                                       // 000000002B54: BF06C123
	s_cselect_b32 s21, 1, 0                                    // 000000002B58: 85158081
	s_cbranch_scc0 label_03D9                                  // 000000002B5C: BF840001
	s_add_u32 s45, s21, s45                                    // 000000002B60: 802D2D15

0000000000002b64 <label_03D9>:
	s_set_gpr_idx_on s45, gpr_idx(DST)                         // 000000002B64: BF11082D
	v_writelane_b32 v11, 0, s22                                // 000000002B68: D28A000B 00002C80
	s_set_gpr_idx_off                                          // 000000002B70: BF9C0000
	s_mul_i32 s45, 64, s45                                     // 000000002B74: 922D2DC0
	s_add_u32 s45, s22, s45                                    // 000000002B78: 802D2D16
	v_writelane_b32 v15, s45, 5                                // 000000002B7C: D28A000F 00010A2D
	s_bfm_b64 exec, s18, 0                                     // 000000002B84: 91FE8012
	buffer_store_dword v15, v9, s[4:7], 0 offen                // 000000002B88: E0701000 80010F09
	v_rcp_f32_e32 v21, v21                                     // 000000002B90: 7E2A4515
	s_nop 0                                                    // 000000002B94: BF800000
	v_mul_f32_e32 v16, v16, v21                                // 000000002B98: 0A202B10
	buffer_store_dword v16, v10, s[8:11], 0 offen              // 000000002B9C: E0701000 8002100A

0000000000002ba4 <label_03E9>:
	s_waitcnt vmcnt(0) expcnt(0) lgkmcnt(0)                    // 000000002BA4: BF8C0000
	s_endpgm                                                   // 000000002BA8: BF810000
